;; amdgpu-corpus repo=ROCm/rocFFT kind=compiled arch=gfx906 opt=O3
	.text
	.amdgcn_target "amdgcn-amd-amdhsa--gfx906"
	.amdhsa_code_object_version 6
	.protected	fft_rtc_fwd_len1560_factors_13_2_2_10_3_wgs_156_tpt_156_dp_op_CI_CI_sbrr_dirReg ; -- Begin function fft_rtc_fwd_len1560_factors_13_2_2_10_3_wgs_156_tpt_156_dp_op_CI_CI_sbrr_dirReg
	.globl	fft_rtc_fwd_len1560_factors_13_2_2_10_3_wgs_156_tpt_156_dp_op_CI_CI_sbrr_dirReg
	.p2align	8
	.type	fft_rtc_fwd_len1560_factors_13_2_2_10_3_wgs_156_tpt_156_dp_op_CI_CI_sbrr_dirReg,@function
fft_rtc_fwd_len1560_factors_13_2_2_10_3_wgs_156_tpt_156_dp_op_CI_CI_sbrr_dirReg: ; @fft_rtc_fwd_len1560_factors_13_2_2_10_3_wgs_156_tpt_156_dp_op_CI_CI_sbrr_dirReg
; %bb.0:
	s_load_dwordx4 s[16:19], s[4:5], 0x18
	s_load_dwordx4 s[8:11], s[4:5], 0x0
	;; [unrolled: 1-line block ×3, first 2 shown]
	v_mul_u32_u24_e32 v1, 0x1a5, v0
	v_add_u32_sdwa v5, s6, v1 dst_sel:DWORD dst_unused:UNUSED_PAD src0_sel:DWORD src1_sel:WORD_1
	s_waitcnt lgkmcnt(0)
	s_load_dwordx2 s[22:23], s[16:17], 0x0
	s_load_dwordx2 s[20:21], s[18:19], 0x0
	v_cmp_lt_u64_e64 s[0:1], s[10:11], 2
	v_mov_b32_e32 v3, 0
	v_mov_b32_e32 v1, 0
	;; [unrolled: 1-line block ×3, first 2 shown]
	s_and_b64 vcc, exec, s[0:1]
	v_mov_b32_e32 v2, 0
	s_cbranch_vccnz .LBB0_8
; %bb.1:
	s_load_dwordx2 s[0:1], s[4:5], 0x10
	s_add_u32 s2, s18, 8
	s_addc_u32 s3, s19, 0
	s_add_u32 s6, s16, 8
	v_mov_b32_e32 v1, 0
	s_addc_u32 s7, s17, 0
	v_mov_b32_e32 v2, 0
	s_waitcnt lgkmcnt(0)
	s_add_u32 s24, s0, 8
	v_mov_b32_e32 v65, v2
	s_addc_u32 s25, s1, 0
	s_mov_b64 s[26:27], 1
	v_mov_b32_e32 v64, v1
.LBB0_2:                                ; =>This Inner Loop Header: Depth=1
	s_load_dwordx2 s[28:29], s[24:25], 0x0
                                        ; implicit-def: $vgpr66_vgpr67
	s_waitcnt lgkmcnt(0)
	v_or_b32_e32 v4, s29, v6
	v_cmp_ne_u64_e32 vcc, 0, v[3:4]
	s_and_saveexec_b64 s[0:1], vcc
	s_xor_b64 s[30:31], exec, s[0:1]
	s_cbranch_execz .LBB0_4
; %bb.3:                                ;   in Loop: Header=BB0_2 Depth=1
	v_cvt_f32_u32_e32 v4, s28
	v_cvt_f32_u32_e32 v7, s29
	s_sub_u32 s0, 0, s28
	s_subb_u32 s1, 0, s29
	v_mac_f32_e32 v4, 0x4f800000, v7
	v_rcp_f32_e32 v4, v4
	v_mul_f32_e32 v4, 0x5f7ffffc, v4
	v_mul_f32_e32 v7, 0x2f800000, v4
	v_trunc_f32_e32 v7, v7
	v_mac_f32_e32 v4, 0xcf800000, v7
	v_cvt_u32_f32_e32 v7, v7
	v_cvt_u32_f32_e32 v4, v4
	v_mul_lo_u32 v8, s0, v7
	v_mul_hi_u32 v9, s0, v4
	v_mul_lo_u32 v11, s1, v4
	v_mul_lo_u32 v10, s0, v4
	v_add_u32_e32 v8, v9, v8
	v_add_u32_e32 v8, v8, v11
	v_mul_hi_u32 v9, v4, v10
	v_mul_lo_u32 v11, v4, v8
	v_mul_hi_u32 v13, v4, v8
	v_mul_hi_u32 v12, v7, v10
	v_mul_lo_u32 v10, v7, v10
	v_mul_hi_u32 v14, v7, v8
	v_add_co_u32_e32 v9, vcc, v9, v11
	v_addc_co_u32_e32 v11, vcc, 0, v13, vcc
	v_mul_lo_u32 v8, v7, v8
	v_add_co_u32_e32 v9, vcc, v9, v10
	v_addc_co_u32_e32 v9, vcc, v11, v12, vcc
	v_addc_co_u32_e32 v10, vcc, 0, v14, vcc
	v_add_co_u32_e32 v8, vcc, v9, v8
	v_addc_co_u32_e32 v9, vcc, 0, v10, vcc
	v_add_co_u32_e32 v4, vcc, v4, v8
	v_addc_co_u32_e32 v7, vcc, v7, v9, vcc
	v_mul_lo_u32 v8, s0, v7
	v_mul_hi_u32 v9, s0, v4
	v_mul_lo_u32 v10, s1, v4
	v_mul_lo_u32 v11, s0, v4
	v_add_u32_e32 v8, v9, v8
	v_add_u32_e32 v8, v8, v10
	v_mul_lo_u32 v12, v4, v8
	v_mul_hi_u32 v13, v4, v11
	v_mul_hi_u32 v14, v4, v8
	;; [unrolled: 1-line block ×3, first 2 shown]
	v_mul_lo_u32 v11, v7, v11
	v_mul_hi_u32 v9, v7, v8
	v_add_co_u32_e32 v12, vcc, v13, v12
	v_addc_co_u32_e32 v13, vcc, 0, v14, vcc
	v_mul_lo_u32 v8, v7, v8
	v_add_co_u32_e32 v11, vcc, v12, v11
	v_addc_co_u32_e32 v10, vcc, v13, v10, vcc
	v_addc_co_u32_e32 v9, vcc, 0, v9, vcc
	v_add_co_u32_e32 v8, vcc, v10, v8
	v_addc_co_u32_e32 v9, vcc, 0, v9, vcc
	v_add_co_u32_e32 v4, vcc, v4, v8
	v_addc_co_u32_e32 v9, vcc, v7, v9, vcc
	v_mad_u64_u32 v[7:8], s[0:1], v5, v9, 0
	v_mul_hi_u32 v10, v5, v4
	v_add_co_u32_e32 v11, vcc, v10, v7
	v_addc_co_u32_e32 v12, vcc, 0, v8, vcc
	v_mad_u64_u32 v[7:8], s[0:1], v6, v4, 0
	v_mad_u64_u32 v[9:10], s[0:1], v6, v9, 0
	v_add_co_u32_e32 v4, vcc, v11, v7
	v_addc_co_u32_e32 v4, vcc, v12, v8, vcc
	v_addc_co_u32_e32 v7, vcc, 0, v10, vcc
	v_add_co_u32_e32 v4, vcc, v4, v9
	v_addc_co_u32_e32 v9, vcc, 0, v7, vcc
	v_mul_lo_u32 v10, s29, v4
	v_mul_lo_u32 v11, s28, v9
	v_mad_u64_u32 v[7:8], s[0:1], s28, v4, 0
	v_add3_u32 v8, v8, v11, v10
	v_sub_u32_e32 v10, v6, v8
	v_mov_b32_e32 v11, s29
	v_sub_co_u32_e32 v7, vcc, v5, v7
	v_subb_co_u32_e64 v10, s[0:1], v10, v11, vcc
	v_subrev_co_u32_e64 v11, s[0:1], s28, v7
	v_subbrev_co_u32_e64 v10, s[0:1], 0, v10, s[0:1]
	v_cmp_le_u32_e64 s[0:1], s29, v10
	v_cndmask_b32_e64 v12, 0, -1, s[0:1]
	v_cmp_le_u32_e64 s[0:1], s28, v11
	v_cndmask_b32_e64 v11, 0, -1, s[0:1]
	v_cmp_eq_u32_e64 s[0:1], s29, v10
	v_cndmask_b32_e64 v10, v12, v11, s[0:1]
	v_add_co_u32_e64 v11, s[0:1], 2, v4
	v_addc_co_u32_e64 v12, s[0:1], 0, v9, s[0:1]
	v_add_co_u32_e64 v13, s[0:1], 1, v4
	v_addc_co_u32_e64 v14, s[0:1], 0, v9, s[0:1]
	v_subb_co_u32_e32 v8, vcc, v6, v8, vcc
	v_cmp_ne_u32_e64 s[0:1], 0, v10
	v_cmp_le_u32_e32 vcc, s29, v8
	v_cndmask_b32_e64 v10, v14, v12, s[0:1]
	v_cndmask_b32_e64 v12, 0, -1, vcc
	v_cmp_le_u32_e32 vcc, s28, v7
	v_cndmask_b32_e64 v7, 0, -1, vcc
	v_cmp_eq_u32_e32 vcc, s29, v8
	v_cndmask_b32_e32 v7, v12, v7, vcc
	v_cmp_ne_u32_e32 vcc, 0, v7
	v_cndmask_b32_e64 v7, v13, v11, s[0:1]
	v_cndmask_b32_e32 v67, v9, v10, vcc
	v_cndmask_b32_e32 v66, v4, v7, vcc
.LBB0_4:                                ;   in Loop: Header=BB0_2 Depth=1
	s_andn2_saveexec_b64 s[0:1], s[30:31]
	s_cbranch_execz .LBB0_6
; %bb.5:                                ;   in Loop: Header=BB0_2 Depth=1
	v_cvt_f32_u32_e32 v4, s28
	s_sub_i32 s30, 0, s28
	v_mov_b32_e32 v67, v3
	v_rcp_iflag_f32_e32 v4, v4
	v_mul_f32_e32 v4, 0x4f7ffffe, v4
	v_cvt_u32_f32_e32 v4, v4
	v_mul_lo_u32 v7, s30, v4
	v_mul_hi_u32 v7, v4, v7
	v_add_u32_e32 v4, v4, v7
	v_mul_hi_u32 v4, v5, v4
	v_mul_lo_u32 v7, v4, s28
	v_add_u32_e32 v8, 1, v4
	v_sub_u32_e32 v7, v5, v7
	v_subrev_u32_e32 v9, s28, v7
	v_cmp_le_u32_e32 vcc, s28, v7
	v_cndmask_b32_e32 v7, v7, v9, vcc
	v_cndmask_b32_e32 v4, v4, v8, vcc
	v_add_u32_e32 v8, 1, v4
	v_cmp_le_u32_e32 vcc, s28, v7
	v_cndmask_b32_e32 v66, v4, v8, vcc
.LBB0_6:                                ;   in Loop: Header=BB0_2 Depth=1
	s_or_b64 exec, exec, s[0:1]
	v_mul_lo_u32 v4, v67, s28
	v_mul_lo_u32 v9, v66, s29
	v_mad_u64_u32 v[7:8], s[0:1], v66, s28, 0
	s_load_dwordx2 s[0:1], s[6:7], 0x0
	s_load_dwordx2 s[28:29], s[2:3], 0x0
	v_add3_u32 v4, v8, v9, v4
	v_sub_co_u32_e32 v5, vcc, v5, v7
	v_subb_co_u32_e32 v4, vcc, v6, v4, vcc
	s_waitcnt lgkmcnt(0)
	v_mul_lo_u32 v6, s0, v4
	v_mul_lo_u32 v7, s1, v5
	v_mad_u64_u32 v[1:2], s[0:1], s0, v5, v[1:2]
	v_mul_lo_u32 v4, s28, v4
	v_mul_lo_u32 v8, s29, v5
	v_mad_u64_u32 v[64:65], s[0:1], s28, v5, v[64:65]
	s_add_u32 s26, s26, 1
	s_addc_u32 s27, s27, 0
	s_add_u32 s2, s2, 8
	v_add3_u32 v65, v8, v65, v4
	s_addc_u32 s3, s3, 0
	v_mov_b32_e32 v4, s10
	s_add_u32 s6, s6, 8
	v_mov_b32_e32 v5, s11
	s_addc_u32 s7, s7, 0
	v_cmp_ge_u64_e32 vcc, s[26:27], v[4:5]
	s_add_u32 s24, s24, 8
	v_add3_u32 v2, v7, v2, v6
	s_addc_u32 s25, s25, 0
	s_cbranch_vccnz .LBB0_9
; %bb.7:                                ;   in Loop: Header=BB0_2 Depth=1
	v_mov_b32_e32 v5, v66
	v_mov_b32_e32 v6, v67
	s_branch .LBB0_2
.LBB0_8:
	v_mov_b32_e32 v65, v2
	v_mov_b32_e32 v67, v6
	;; [unrolled: 1-line block ×4, first 2 shown]
.LBB0_9:
	s_load_dwordx2 s[0:1], s[4:5], 0x28
	s_mov_b32 s4, 0x1a41a42
	v_mul_hi_u32 v3, v0, s4
	s_lshl_b64 s[2:3], s[10:11], 3
	s_add_u32 s4, s18, s2
	s_waitcnt lgkmcnt(0)
	v_cmp_gt_u64_e32 vcc, s[0:1], v[66:67]
	v_mul_u32_u24_e32 v3, 0x9c, v3
	v_sub_u32_e32 v170, v0, v3
	s_movk_i32 s0, 0x78
	v_cmp_gt_u32_e64 s[0:1], s0, v170
	s_addc_u32 s5, s19, s3
	s_and_b64 s[10:11], vcc, s[0:1]
                                        ; implicit-def: $vgpr10_vgpr11
                                        ; implicit-def: $vgpr14_vgpr15
                                        ; implicit-def: $vgpr18_vgpr19
                                        ; implicit-def: $vgpr22_vgpr23
                                        ; implicit-def: $vgpr26_vgpr27
                                        ; implicit-def: $vgpr30_vgpr31
                                        ; implicit-def: $vgpr38_vgpr39
                                        ; implicit-def: $vgpr42_vgpr43
                                        ; implicit-def: $vgpr46_vgpr47
                                        ; implicit-def: $vgpr50_vgpr51
                                        ; implicit-def: $vgpr54_vgpr55
                                        ; implicit-def: $vgpr58_vgpr59
                                        ; implicit-def: $vgpr34_vgpr35
	s_and_saveexec_b64 s[6:7], s[10:11]
	s_cbranch_execz .LBB0_11
; %bb.10:
	s_add_u32 s2, s16, s2
	s_addc_u32 s3, s17, s3
	s_load_dwordx2 s[2:3], s[2:3], 0x0
	v_mad_u64_u32 v[3:4], s[10:11], s22, v170, 0
	v_add_u32_e32 v12, 0x1e0, v170
	v_add_u32_e32 v16, 0x2d0, v170
	s_waitcnt lgkmcnt(0)
	v_mul_lo_u32 v9, s3, v66
	v_mul_lo_u32 v10, s2, v67
	v_mad_u64_u32 v[5:6], s[2:3], s2, v66, 0
	v_mov_b32_e32 v0, v4
	v_mad_u64_u32 v[7:8], s[2:3], s23, v170, v[0:1]
	v_add3_u32 v6, v6, v10, v9
	v_lshlrev_b64 v[5:6], 4, v[5:6]
	v_mov_b32_e32 v4, v7
	v_mov_b32_e32 v0, s13
	v_add_co_u32_e64 v7, s[2:3], s12, v5
	v_add_u32_e32 v9, 0x78, v170
	v_addc_co_u32_e64 v8, s[2:3], v0, v6, s[2:3]
	v_mad_u64_u32 v[5:6], s[2:3], s22, v9, 0
	v_lshlrev_b64 v[0:1], 4, v[1:2]
	v_add_u32_e32 v10, 0x168, v170
	v_add_co_u32_e64 v14, s[2:3], v7, v0
	v_mov_b32_e32 v2, v6
	v_addc_co_u32_e64 v15, s[2:3], v8, v1, s[2:3]
	v_lshlrev_b64 v[0:1], 4, v[3:4]
	v_mad_u64_u32 v[2:3], s[2:3], s23, v9, v[2:3]
	v_add_u32_e32 v7, 0xf0, v170
	v_mad_u64_u32 v[3:4], s[2:3], s22, v7, 0
	v_add_co_u32_e64 v0, s[2:3], v14, v0
	v_mov_b32_e32 v6, v2
	v_mov_b32_e32 v2, v4
	v_addc_co_u32_e64 v1, s[2:3], v15, v1, s[2:3]
	v_mad_u64_u32 v[7:8], s[2:3], s23, v7, v[2:3]
	v_mad_u64_u32 v[8:9], s[2:3], s22, v10, 0
	v_lshlrev_b64 v[5:6], 4, v[5:6]
	v_mov_b32_e32 v4, v7
	v_add_co_u32_e64 v5, s[2:3], v14, v5
	v_lshlrev_b64 v[2:3], 4, v[3:4]
	v_mov_b32_e32 v4, v9
	v_addc_co_u32_e64 v6, s[2:3], v15, v6, s[2:3]
	v_mad_u64_u32 v[9:10], s[2:3], s23, v10, v[4:5]
	v_mad_u64_u32 v[10:11], s[2:3], s22, v12, 0
	v_add_co_u32_e64 v2, s[2:3], v14, v2
	v_mov_b32_e32 v4, v11
	v_addc_co_u32_e64 v3, s[2:3], v15, v3, s[2:3]
	v_lshlrev_b64 v[7:8], 4, v[8:9]
	v_mad_u64_u32 v[11:12], s[2:3], s23, v12, v[4:5]
	v_add_u32_e32 v9, 0x258, v170
	v_mad_u64_u32 v[12:13], s[2:3], s22, v9, 0
	v_add_co_u32_e64 v60, s[2:3], v14, v7
	v_mov_b32_e32 v4, v13
	v_addc_co_u32_e64 v61, s[2:3], v15, v8, s[2:3]
	v_lshlrev_b64 v[7:8], 4, v[10:11]
	v_mad_u64_u32 v[9:10], s[2:3], s23, v9, v[4:5]
	v_mad_u64_u32 v[10:11], s[2:3], s22, v16, 0
	v_add_co_u32_e64 v62, s[2:3], v14, v7
	v_mov_b32_e32 v13, v9
	v_mov_b32_e32 v4, v11
	v_addc_co_u32_e64 v63, s[2:3], v15, v8, s[2:3]
	v_lshlrev_b64 v[7:8], 4, v[12:13]
	v_mad_u64_u32 v[11:12], s[2:3], s23, v16, v[4:5]
	v_add_u32_e32 v9, 0x348, v170
	v_mad_u64_u32 v[12:13], s[2:3], s22, v9, 0
	v_add_co_u32_e64 v68, s[2:3], v14, v7
	v_mov_b32_e32 v4, v13
	v_addc_co_u32_e64 v69, s[2:3], v15, v8, s[2:3]
	v_lshlrev_b64 v[7:8], 4, v[10:11]
	v_mad_u64_u32 v[9:10], s[2:3], s23, v9, v[4:5]
	v_add_u32_e32 v16, 0x3c0, v170
	v_mad_u64_u32 v[10:11], s[2:3], s22, v16, 0
	v_add_co_u32_e64 v70, s[2:3], v14, v7
	v_mov_b32_e32 v13, v9
	v_mov_b32_e32 v4, v11
	v_addc_co_u32_e64 v71, s[2:3], v15, v8, s[2:3]
	v_lshlrev_b64 v[7:8], 4, v[12:13]
	v_mad_u64_u32 v[11:12], s[2:3], s23, v16, v[4:5]
	v_add_u32_e32 v9, 0x438, v170
	v_mad_u64_u32 v[12:13], s[2:3], s22, v9, 0
	v_add_co_u32_e64 v72, s[2:3], v14, v7
	v_mov_b32_e32 v4, v13
	v_addc_co_u32_e64 v73, s[2:3], v15, v8, s[2:3]
	v_lshlrev_b64 v[7:8], 4, v[10:11]
	v_mad_u64_u32 v[9:10], s[2:3], s23, v9, v[4:5]
	v_add_u32_e32 v16, 0x4b0, v170
	;; [unrolled: 15-line block ×3, first 2 shown]
	v_mad_u64_u32 v[10:11], s[2:3], s22, v16, 0
	v_add_co_u32_e64 v78, s[2:3], v14, v7
	v_mov_b32_e32 v13, v9
	v_mov_b32_e32 v4, v11
	v_addc_co_u32_e64 v79, s[2:3], v15, v8, s[2:3]
	v_lshlrev_b64 v[7:8], 4, v[12:13]
	v_mad_u64_u32 v[11:12], s[2:3], s23, v16, v[4:5]
	v_add_co_u32_e64 v80, s[2:3], v14, v7
	v_addc_co_u32_e64 v81, s[2:3], v15, v8, s[2:3]
	v_lshlrev_b64 v[7:8], 4, v[10:11]
	v_add_co_u32_e64 v82, s[2:3], v14, v7
	v_addc_co_u32_e64 v83, s[2:3], v15, v8, s[2:3]
	global_load_dwordx4 v[32:35], v[0:1], off
	global_load_dwordx4 v[56:59], v[5:6], off
	;; [unrolled: 1-line block ×13, first 2 shown]
.LBB0_11:
	s_or_b64 exec, exec, s[6:7]
	s_waitcnt vmcnt(0)
	v_add_f64 v[68:69], v[8:9], v[56:57]
	s_mov_b32 s2, 0x1ea71119
	s_mov_b32 s3, 0x3fe22d96
	v_add_f64 v[70:71], v[58:59], -v[10:11]
	v_add_f64 v[72:73], v[12:13], v[52:53]
	v_add_f64 v[102:103], v[56:57], -v[8:9]
	s_mov_b32 s6, 0x42a4c3d2
	s_mov_b32 s10, 0xb2365da1
	v_mul_f64 v[110:111], v[68:69], s[2:3]
	s_mov_b32 s7, 0xbfea55e2
	s_mov_b32 s11, 0xbfd6b1d8
	v_add_f64 v[74:75], v[54:55], -v[14:15]
	v_add_f64 v[76:77], v[10:11], v[58:59]
	v_add_f64 v[104:105], v[52:53], -v[12:13]
	v_mul_f64 v[106:107], v[72:73], s[10:11]
	v_mul_f64 v[118:119], v[102:103], s[6:7]
	v_fma_f64 v[0:1], v[70:71], s[6:7], v[110:111]
	v_add_f64 v[80:81], v[16:17], v[48:49]
	s_mov_b32 s16, 0x2ef20147
	s_mov_b32 s12, 0x93053d00
	;; [unrolled: 1-line block ×4, first 2 shown]
	v_add_f64 v[78:79], v[14:15], v[54:55]
	v_mul_f64 v[122:123], v[104:105], s[16:17]
	v_fma_f64 v[2:3], v[74:75], s[16:17], v[106:107]
	v_fma_f64 v[4:5], v[76:77], s[2:3], -v[118:119]
	v_add_f64 v[0:1], v[32:33], v[0:1]
	v_add_f64 v[82:83], v[50:51], -v[18:19]
	v_mul_f64 v[88:89], v[80:81], s[12:13]
	v_add_f64 v[84:85], v[20:21], v[44:45]
	s_mov_b32 s22, 0x4bc48dbf
	s_mov_b32 s18, 0xd0032e0c
	;; [unrolled: 1-line block ×4, first 2 shown]
	v_fma_f64 v[6:7], v[78:79], s[10:11], -v[122:123]
	v_add_f64 v[4:5], v[34:35], v[4:5]
	v_add_f64 v[0:1], v[2:3], v[0:1]
	v_fma_f64 v[2:3], v[82:83], s[22:23], v[88:89]
	v_add_f64 v[92:93], v[46:47], -v[22:23]
	v_mul_f64 v[98:99], v[84:85], s[18:19]
	s_mov_b32 s38, 0x24c2f84
	s_mov_b32 s24, 0xebaa3ed8
	;; [unrolled: 1-line block ×6, first 2 shown]
	v_add_f64 v[4:5], v[6:7], v[4:5]
	v_add_f64 v[0:1], v[2:3], v[0:1]
	v_fma_f64 v[6:7], v[92:93], s[38:39], v[98:99]
	v_mul_f64 v[144:145], v[68:69], s[24:25]
	v_mul_f64 v[162:163], v[102:103], s[28:29]
	v_add_f64 v[90:91], v[48:49], -v[16:17]
	v_mul_f64 v[146:147], v[72:73], s[12:13]
	v_mul_f64 v[166:167], v[104:105], s[22:23]
	s_mov_b32 s43, 0x3fedeba7
	s_mov_b32 s42, s16
	v_add_f64 v[0:1], v[6:7], v[0:1]
	v_fma_f64 v[6:7], v[70:71], s[28:29], v[144:145]
	v_fma_f64 v[60:61], v[76:77], s[24:25], -v[162:163]
	v_add_f64 v[86:87], v[18:19], v[50:51]
	v_mul_f64 v[124:125], v[90:91], s[22:23]
	v_add_f64 v[100:101], v[44:45], -v[20:21]
	v_fma_f64 v[116:117], v[74:75], s[22:23], v[146:147]
	v_fma_f64 v[120:121], v[78:79], s[12:13], -v[166:167]
	v_mul_f64 v[150:151], v[80:81], s[10:11]
	v_add_f64 v[6:7], v[32:33], v[6:7]
	v_add_f64 v[60:61], v[34:35], v[60:61]
	v_mul_f64 v[158:159], v[90:91], s[42:43]
	s_mov_b32 s30, 0xe00740e9
	s_mov_b32 s31, 0x3fec55a7
	;; [unrolled: 1-line block ×4, first 2 shown]
	v_fma_f64 v[2:3], v[86:87], s[12:13], -v[124:125]
	v_add_f64 v[94:95], v[24:25], v[40:41]
	v_add_f64 v[96:97], v[22:23], v[46:47]
	v_mul_f64 v[132:133], v[100:101], s[38:39]
	v_add_f64 v[126:127], v[40:41], -v[24:25]
	v_add_f64 v[6:7], v[116:117], v[6:7]
	v_add_f64 v[60:61], v[120:121], v[60:61]
	v_fma_f64 v[120:121], v[82:83], s[42:43], v[150:151]
	v_fma_f64 v[130:131], v[86:87], s[10:11], -v[158:159]
	v_mul_f64 v[152:153], v[84:85], s[30:31]
	v_mul_f64 v[160:161], v[100:101], s[34:35]
	s_mov_b32 s41, 0x3fefc445
	s_mov_b32 s40, s28
	v_add_f64 v[108:109], v[42:43], -v[26:27]
	v_mul_f64 v[112:113], v[94:95], s[24:25]
	v_add_f64 v[2:3], v[2:3], v[4:5]
	v_fma_f64 v[4:5], v[96:97], s[18:19], -v[132:133]
	v_add_f64 v[114:115], v[26:27], v[42:43]
	v_mul_f64 v[136:137], v[126:127], s[40:41]
	v_add_f64 v[116:117], v[28:29], v[36:37]
	v_add_f64 v[128:129], v[36:37], -v[28:29]
	v_add_f64 v[6:7], v[120:121], v[6:7]
	v_add_f64 v[60:61], v[130:131], v[60:61]
	v_fma_f64 v[138:139], v[92:93], s[34:35], v[152:153]
	v_fma_f64 v[140:141], v[96:97], s[30:31], -v[160:161]
	v_mul_f64 v[156:157], v[94:95], s[2:3]
	v_mul_f64 v[164:165], v[126:127], s[6:7]
	s_mov_b32 s37, 0xbfe5384d
	s_mov_b32 s36, s38
	v_fma_f64 v[62:63], v[108:109], s[40:41], v[112:113]
	v_add_f64 v[2:3], v[4:5], v[2:3]
	v_fma_f64 v[4:5], v[114:115], s[24:25], -v[136:137]
	v_add_f64 v[130:131], v[38:39], -v[30:31]
	v_mul_f64 v[134:135], v[116:117], s[30:31]
	v_add_f64 v[120:121], v[30:31], v[38:39]
	v_mul_f64 v[142:143], v[128:129], s[34:35]
	v_add_f64 v[6:7], v[138:139], v[6:7]
	v_add_f64 v[60:61], v[140:141], v[60:61]
	v_fma_f64 v[138:139], v[108:109], s[6:7], v[156:157]
	v_fma_f64 v[140:141], v[114:115], s[2:3], -v[164:165]
	v_mul_f64 v[154:155], v[116:117], s[18:19]
	v_mul_f64 v[168:169], v[128:129], s[36:37]
	v_add_f64 v[0:1], v[62:63], v[0:1]
	v_add_f64 v[2:3], v[4:5], v[2:3]
	v_fma_f64 v[4:5], v[130:131], s[34:35], v[134:135]
	v_fma_f64 v[62:63], v[120:121], s[30:31], -v[142:143]
	v_add_f64 v[138:139], v[138:139], v[6:7]
	v_add_f64 v[60:61], v[140:141], v[60:61]
	v_fma_f64 v[140:141], v[130:131], s[36:37], v[154:155]
	v_fma_f64 v[148:149], v[120:121], s[18:19], -v[168:169]
	v_add_f64 v[4:5], v[4:5], v[0:1]
	v_add_f64 v[6:7], v[62:63], v[2:3]
	;; [unrolled: 1-line block ×4, first 2 shown]
	s_and_saveexec_b64 s[26:27], s[0:1]
	s_cbranch_execz .LBB0_13
; %bb.12:
	v_mul_f64 v[60:61], v[102:103], s[22:23]
	v_mul_f64 v[62:63], v[70:71], s[22:23]
	;; [unrolled: 1-line block ×5, first 2 shown]
	s_mov_b32 s1, 0x3fea55e2
	s_mov_b32 s0, s6
	v_mul_f64 v[207:208], v[82:83], s[36:37]
	v_fma_f64 v[173:174], v[76:77], s[12:13], -v[60:61]
	v_fma_f64 v[177:178], v[68:69], s[12:13], v[62:63]
	v_fma_f64 v[181:182], v[78:79], s[30:31], -v[171:172]
	v_fma_f64 v[209:210], v[72:73], s[30:31], v[175:176]
	v_mul_f64 v[211:212], v[100:101], s[0:1]
	v_fma_f64 v[213:214], v[86:87], s[18:19], -v[179:180]
	v_fma_f64 v[60:61], v[76:77], s[12:13], v[60:61]
	v_fma_f64 v[217:218], v[80:81], s[18:19], v[207:208]
	v_add_f64 v[173:174], v[34:35], v[173:174]
	v_add_f64 v[177:178], v[32:33], v[177:178]
	v_fma_f64 v[171:172], v[78:79], s[30:31], v[171:172]
	v_fma_f64 v[179:180], v[86:87], s[18:19], v[179:180]
	v_fma_f64 v[219:220], v[96:97], s[2:3], -v[211:212]
	v_fma_f64 v[211:212], v[96:97], s[2:3], v[211:212]
	v_add_f64 v[60:61], v[34:35], v[60:61]
	v_fma_f64 v[207:208], v[80:81], s[18:19], -v[207:208]
	v_add_f64 v[173:174], v[181:182], v[173:174]
	v_mul_f64 v[181:182], v[92:93], s[0:1]
	v_add_f64 v[177:178], v[209:210], v[177:178]
	v_mul_f64 v[209:210], v[126:127], s[16:17]
	v_mul_f64 v[235:236], v[82:83], s[6:7]
	;; [unrolled: 1-line block ×3, first 2 shown]
	v_add_f64 v[60:61], v[171:172], v[60:61]
	v_mul_f64 v[195:196], v[78:79], s[12:13]
	v_add_f64 v[173:174], v[213:214], v[173:174]
	v_mul_f64 v[213:214], v[108:109], s[16:17]
	v_fma_f64 v[221:222], v[84:85], s[2:3], v[181:182]
	v_add_f64 v[177:178], v[217:218], v[177:178]
	v_mul_f64 v[217:218], v[128:129], s[40:41]
	v_fma_f64 v[223:224], v[114:115], s[10:11], -v[209:210]
	v_add_f64 v[60:61], v[179:180], v[60:61]
	v_fma_f64 v[179:180], v[68:69], s[12:13], -v[62:63]
	v_add_f64 v[173:174], v[219:220], v[173:174]
	v_mul_f64 v[219:220], v[130:131], s[40:41]
	v_fma_f64 v[225:226], v[94:95], s[10:11], v[213:214]
	v_add_f64 v[171:172], v[221:222], v[177:178]
	v_fma_f64 v[177:178], v[120:121], s[24:25], -v[217:218]
	v_mul_f64 v[221:222], v[108:109], s[40:41]
	v_fma_f64 v[181:182], v[84:85], s[2:3], -v[181:182]
	v_add_f64 v[179:180], v[32:33], v[179:180]
	v_add_f64 v[173:174], v[223:224], v[173:174]
	v_fma_f64 v[223:224], v[116:117], s[24:25], v[219:220]
	v_fma_f64 v[243:244], v[80:81], s[2:3], v[235:236]
	v_add_f64 v[171:172], v[225:226], v[171:172]
	v_fma_f64 v[213:214], v[94:95], s[10:11], -v[213:214]
	v_add_f64 v[162:163], v[189:190], v[162:163]
	v_fma_f64 v[219:220], v[116:117], s[24:25], -v[219:220]
	v_mul_f64 v[201:202], v[86:87], s[10:11]
	v_add_f64 v[62:63], v[177:178], v[173:174]
	v_mul_f64 v[177:178], v[102:103], s[36:37]
	v_fma_f64 v[173:174], v[114:115], s[10:11], v[209:210]
	v_add_f64 v[209:210], v[211:212], v[60:61]
	v_add_f64 v[60:61], v[223:224], v[171:172]
	v_fma_f64 v[171:172], v[72:73], s[30:31], -v[175:176]
	v_mul_f64 v[175:176], v[70:71], s[36:37]
	v_fma_f64 v[211:212], v[120:121], s[24:25], v[217:218]
	v_mul_f64 v[217:218], v[104:105], s[40:41]
	v_fma_f64 v[223:224], v[76:77], s[18:19], -v[177:178]
	v_fma_f64 v[177:178], v[76:77], s[18:19], v[177:178]
	v_add_f64 v[173:174], v[173:174], v[209:210]
	v_mul_f64 v[209:210], v[74:75], s[40:41]
	v_add_f64 v[171:172], v[171:172], v[179:180]
	v_fma_f64 v[231:232], v[68:69], s[18:19], v[175:176]
	v_mul_f64 v[179:180], v[90:91], s[6:7]
	v_fma_f64 v[233:234], v[78:79], s[24:25], -v[217:218]
	v_add_f64 v[223:224], v[34:35], v[223:224]
	s_mov_b32 s41, 0x3fcea1e5
	s_mov_b32 s40, s22
	v_fma_f64 v[237:238], v[72:73], s[24:25], v[209:210]
	v_mul_f64 v[239:240], v[100:101], s[40:41]
	v_add_f64 v[231:232], v[32:33], v[231:232]
	v_fma_f64 v[241:242], v[86:87], s[2:3], -v[179:180]
	v_add_f64 v[171:172], v[207:208], v[171:172]
	v_add_f64 v[223:224], v[233:234], v[223:224]
	v_mul_f64 v[207:208], v[126:127], s[34:35]
	v_mul_f64 v[233:234], v[92:93], s[40:41]
	v_fma_f64 v[217:218], v[78:79], s[24:25], v[217:218]
	v_add_f64 v[173:174], v[211:212], v[173:174]
	v_add_f64 v[231:232], v[237:238], v[231:232]
	v_fma_f64 v[237:238], v[96:97], s[12:13], -v[239:240]
	v_add_f64 v[171:172], v[181:182], v[171:172]
	v_add_f64 v[223:224], v[241:242], v[223:224]
	v_mul_f64 v[181:182], v[128:129], s[16:17]
	v_mul_f64 v[241:242], v[108:109], s[34:35]
	v_fma_f64 v[245:246], v[84:85], s[12:13], v[233:234]
	v_fma_f64 v[211:212], v[68:69], s[18:19], -v[175:176]
	v_add_f64 v[231:232], v[243:244], v[231:232]
	v_fma_f64 v[243:244], v[114:115], s[30:31], -v[207:208]
	v_add_f64 v[171:172], v[213:214], v[171:172]
	v_add_f64 v[223:224], v[237:238], v[223:224]
	v_fma_f64 v[213:214], v[120:121], s[10:11], -v[181:182]
	v_mul_f64 v[237:238], v[130:131], s[16:17]
	v_fma_f64 v[247:248], v[94:95], s[30:31], v[241:242]
	v_add_f64 v[166:167], v[195:196], v[166:167]
	v_add_f64 v[231:232], v[245:246], v[231:232]
	;; [unrolled: 1-line block ×6, first 2 shown]
	v_fma_f64 v[243:244], v[116:117], s[10:11], v[237:238]
	v_fma_f64 v[179:180], v[86:87], s[2:3], v[179:180]
	v_fma_f64 v[209:210], v[72:73], s[24:25], -v[209:210]
	v_add_f64 v[231:232], v[247:248], v[231:232]
	v_add_f64 v[217:218], v[217:218], v[245:246]
	;; [unrolled: 1-line block ×4, first 2 shown]
	v_mul_f64 v[213:214], v[102:103], s[16:17]
	v_mul_f64 v[219:220], v[104:105], s[38:39]
	v_add_f64 v[58:59], v[58:59], v[34:35]
	v_add_f64 v[56:57], v[56:57], v[32:33]
	v_mul_f64 v[215:216], v[96:97], s[30:31]
	v_add_f64 v[158:159], v[201:202], v[158:159]
	v_add_f64 v[162:163], v[166:167], v[162:163]
	;; [unrolled: 1-line block ×3, first 2 shown]
	v_fma_f64 v[223:224], v[76:77], s[10:11], -v[213:214]
	v_fma_f64 v[231:232], v[96:97], s[12:13], v[239:240]
	v_add_f64 v[179:180], v[179:180], v[217:218]
	v_fma_f64 v[217:218], v[80:81], s[2:3], -v[235:236]
	v_add_f64 v[209:210], v[209:210], v[211:212]
	v_mul_f64 v[211:212], v[90:91], s[34:35]
	v_fma_f64 v[239:240], v[78:79], s[18:19], -v[219:220]
	v_add_f64 v[54:55], v[54:55], v[58:59]
	v_add_f64 v[223:224], v[34:35], v[223:224]
	;; [unrolled: 1-line block ×3, first 2 shown]
	v_mul_f64 v[229:230], v[114:115], s[2:3]
	v_add_f64 v[160:161], v[215:216], v[160:161]
	v_add_f64 v[158:159], v[158:159], v[162:163]
	;; [unrolled: 1-line block ×3, first 2 shown]
	v_fma_f64 v[217:218], v[86:87], s[30:31], -v[211:212]
	v_add_f64 v[50:51], v[50:51], v[54:55]
	v_add_f64 v[223:224], v[239:240], v[223:224]
	v_mul_f64 v[239:240], v[100:101], s[28:29]
	v_add_f64 v[48:49], v[48:49], v[52:53]
	v_mul_f64 v[185:186], v[76:77], s[2:3]
	v_mul_f64 v[195:196], v[120:121], s[18:19]
	v_add_f64 v[164:165], v[229:230], v[164:165]
	v_add_f64 v[158:159], v[160:161], v[158:159]
	;; [unrolled: 1-line block ×4, first 2 shown]
	v_fma_f64 v[223:224], v[96:97], s[24:25], -v[239:240]
	v_add_f64 v[48:49], v[44:45], v[48:49]
	v_mul_f64 v[183:184], v[70:71], s[6:7]
	v_mul_f64 v[191:192], v[78:79], s[10:11]
	v_add_f64 v[168:169], v[195:196], v[168:169]
	v_add_f64 v[158:159], v[164:165], v[158:159]
	;; [unrolled: 1-line block ×3, first 2 shown]
	v_mul_f64 v[205:206], v[92:93], s[34:35]
	v_mul_f64 v[245:246], v[82:83], s[34:35]
	v_add_f64 v[217:218], v[223:224], v[217:218]
	v_mul_f64 v[223:224], v[130:131], s[34:35]
	s_mov_b32 s35, 0xbfddbe06
	v_add_f64 v[42:43], v[42:43], v[46:47]
	v_add_f64 v[40:41], v[40:41], v[48:49]
	v_mul_f64 v[148:149], v[74:75], s[16:17]
	v_mul_f64 v[197:198], v[86:87], s[12:13]
	;; [unrolled: 1-line block ×3, first 2 shown]
	v_fma_f64 v[233:234], v[84:85], s[12:13], -v[233:234]
	v_add_f64 v[118:119], v[168:169], v[158:159]
	v_add_f64 v[122:123], v[191:192], v[122:123]
	v_add_f64 v[158:159], v[34:35], v[164:165]
	v_add_f64 v[110:111], v[110:111], -v[183:184]
	v_mul_f64 v[102:103], v[102:103], s[34:35]
	v_mul_f64 v[46:47], v[70:71], s[34:35]
	;; [unrolled: 1-line block ×3, first 2 shown]
	v_add_f64 v[38:39], v[38:39], v[42:43]
	v_add_f64 v[36:37], v[36:37], v[40:41]
	v_mul_f64 v[193:194], v[74:75], s[22:23]
	v_mul_f64 v[138:139], v[82:83], s[22:23]
	;; [unrolled: 1-line block ×3, first 2 shown]
	v_fma_f64 v[207:208], v[114:115], s[30:31], v[207:208]
	v_add_f64 v[179:180], v[231:232], v[179:180]
	v_mul_f64 v[231:232], v[74:75], s[38:39]
	v_fma_f64 v[243:244], v[68:69], s[10:11], v[235:236]
	v_fma_f64 v[241:242], v[94:95], s[30:31], -v[241:242]
	v_add_f64 v[209:210], v[233:234], v[209:210]
	v_fma_f64 v[213:214], v[76:77], s[10:11], v[213:214]
	v_add_f64 v[124:125], v[197:198], v[124:125]
	v_add_f64 v[122:123], v[122:123], v[158:159]
	v_add_f64 v[106:107], v[106:107], -v[148:149]
	v_add_f64 v[110:111], v[32:33], v[110:111]
	v_mul_f64 v[104:105], v[104:105], s[6:7]
	v_fma_f64 v[148:149], v[76:77], s[30:31], -v[102:103]
	v_fma_f64 v[76:77], v[76:77], s[30:31], v[102:103]
	v_mul_f64 v[74:75], v[74:75], s[6:7]
	v_fma_f64 v[40:41], v[68:69], s[30:31], -v[46:47]
	v_add_f64 v[144:145], v[144:145], -v[187:188]
	v_fma_f64 v[235:236], v[68:69], s[10:11], -v[235:236]
	v_fma_f64 v[46:47], v[68:69], s[30:31], v[46:47]
	v_add_f64 v[30:31], v[30:31], v[38:39]
	v_add_f64 v[28:29], v[28:29], v[36:37]
	v_mul_f64 v[140:141], v[92:93], s[38:39]
	v_mul_f64 v[227:228], v[114:115], s[24:25]
	v_fma_f64 v[181:182], v[120:121], s[10:11], v[181:182]
	v_fma_f64 v[247:248], v[72:73], s[18:19], v[231:232]
	v_add_f64 v[243:244], v[32:33], v[243:244]
	v_add_f64 v[179:180], v[207:208], v[179:180]
	v_fma_f64 v[237:238], v[116:117], s[10:11], -v[237:238]
	v_add_f64 v[209:210], v[241:242], v[209:210]
	v_add_f64 v[213:214], v[34:35], v[213:214]
	;; [unrolled: 1-line block ×4, first 2 shown]
	v_add_f64 v[88:89], v[88:89], -v[138:139]
	v_add_f64 v[106:107], v[106:107], v[110:111]
	v_mul_f64 v[90:91], v[90:91], s[28:29]
	v_add_f64 v[124:125], v[34:35], v[148:149]
	v_mul_f64 v[42:43], v[82:83], s[28:29]
	v_fma_f64 v[68:69], v[78:79], s[2:3], v[104:105]
	v_add_f64 v[34:35], v[34:35], v[76:77]
	v_fma_f64 v[76:77], v[72:73], s[2:3], -v[74:75]
	v_add_f64 v[36:37], v[32:33], v[40:41]
	v_mul_f64 v[199:200], v[82:83], s[42:43]
	v_add_f64 v[146:147], v[146:147], -v[193:194]
	v_add_f64 v[144:145], v[32:33], v[144:145]
	v_fma_f64 v[219:220], v[78:79], s[18:19], v[219:220]
	v_fma_f64 v[231:232], v[72:73], s[18:19], -v[231:232]
	v_add_f64 v[235:236], v[32:33], v[235:236]
	v_fma_f64 v[110:111], v[78:79], s[2:3], -v[104:105]
	v_fma_f64 v[38:39], v[72:73], s[2:3], v[74:75]
	v_add_f64 v[32:33], v[32:33], v[46:47]
	v_add_f64 v[26:27], v[26:27], v[30:31]
	v_add_f64 v[24:25], v[24:25], v[28:29]
	v_add_f64 v[243:244], v[247:248], v[243:244]
	v_mul_f64 v[247:248], v[92:93], s[28:29]
	v_add_f64 v[181:182], v[181:182], v[179:180]
	v_add_f64 v[179:180], v[237:238], v[209:210]
	v_mul_f64 v[209:210], v[120:121], s[30:31]
	v_add_f64 v[136:137], v[227:228], v[136:137]
	v_add_f64 v[56:57], v[132:133], v[122:123]
	v_add_f64 v[58:59], v[98:99], -v[140:141]
	v_add_f64 v[88:89], v[88:89], v[106:107]
	v_mul_f64 v[98:99], v[100:101], s[16:17]
	v_mul_f64 v[92:93], v[92:93], s[16:17]
	v_fma_f64 v[40:41], v[86:87], s[24:25], v[90:91]
	v_add_f64 v[34:35], v[68:69], v[34:35]
	v_fma_f64 v[46:47], v[80:81], s[24:25], -v[42:43]
	v_add_f64 v[28:29], v[76:77], v[36:37]
	v_mul_f64 v[233:234], v[126:127], s[40:41]
	v_add_f64 v[150:151], v[150:151], -v[199:200]
	v_add_f64 v[144:145], v[146:147], v[144:145]
	v_fma_f64 v[207:208], v[80:81], s[30:31], v[245:246]
	v_add_f64 v[213:214], v[219:220], v[213:214]
	v_fma_f64 v[211:212], v[86:87], s[30:31], v[211:212]
	v_fma_f64 v[245:246], v[80:81], s[30:31], -v[245:246]
	v_add_f64 v[231:232], v[231:232], v[235:236]
	v_fma_f64 v[100:101], v[86:87], s[24:25], -v[90:91]
	v_add_f64 v[106:107], v[110:111], v[124:125]
	v_fma_f64 v[30:31], v[80:81], s[24:25], v[42:43]
	v_add_f64 v[32:33], v[38:39], v[32:33]
	v_add_f64 v[22:23], v[22:23], v[26:27]
	;; [unrolled: 1-line block ×5, first 2 shown]
	v_add_f64 v[54:55], v[112:113], -v[221:222]
	v_add_f64 v[56:57], v[58:59], v[88:89]
	v_mul_f64 v[58:59], v[126:127], s[36:37]
	v_mul_f64 v[70:71], v[108:109], s[36:37]
	v_fma_f64 v[36:37], v[96:97], s[10:11], v[98:99]
	v_add_f64 v[34:35], v[40:41], v[34:35]
	v_fma_f64 v[38:39], v[84:85], s[10:11], -v[92:93]
	v_add_f64 v[24:25], v[46:47], v[28:29]
	v_mul_f64 v[225:226], v[108:109], s[6:7]
	v_fma_f64 v[241:242], v[114:115], s[12:13], -v[233:234]
	v_add_f64 v[152:153], v[152:153], -v[205:206]
	v_add_f64 v[144:145], v[150:151], v[144:145]
	v_add_f64 v[207:208], v[207:208], v[243:244]
	v_fma_f64 v[243:244], v[84:85], s[24:25], v[247:248]
	v_mul_f64 v[237:238], v[108:109], s[40:41]
	v_fma_f64 v[166:167], v[96:97], s[24:25], v[239:240]
	v_add_f64 v[201:202], v[211:212], v[213:214]
	v_fma_f64 v[193:194], v[84:85], s[24:25], -v[247:248]
	v_add_f64 v[211:212], v[245:246], v[231:232]
	v_fma_f64 v[88:89], v[96:97], s[10:11], -v[98:99]
	v_add_f64 v[100:101], v[100:101], v[106:107]
	v_fma_f64 v[26:27], v[84:85], s[10:11], v[92:93]
	v_add_f64 v[28:29], v[30:31], v[32:33]
	v_add_f64 v[18:19], v[18:19], v[22:23]
	;; [unrolled: 1-line block ×5, first 2 shown]
	v_mul_f64 v[54:55], v[128:129], s[22:23]
	v_mul_f64 v[48:49], v[130:131], s[22:23]
	v_fma_f64 v[30:31], v[114:115], s[18:19], v[58:59]
	v_add_f64 v[32:33], v[36:37], v[34:35]
	v_fma_f64 v[34:35], v[94:95], s[18:19], -v[70:71]
	v_add_f64 v[20:21], v[38:39], v[24:25]
	v_add_f64 v[217:218], v[241:242], v[217:218]
	v_mul_f64 v[241:242], v[130:131], s[36:37]
	v_add_f64 v[156:157], v[156:157], -v[225:226]
	v_add_f64 v[185:186], v[152:153], v[144:145]
	v_add_f64 v[207:208], v[243:244], v[207:208]
	v_mul_f64 v[243:244], v[128:129], s[0:1]
	v_mul_f64 v[219:220], v[130:131], s[0:1]
	v_fma_f64 v[162:163], v[114:115], s[12:13], v[233:234]
	v_add_f64 v[166:167], v[166:167], v[201:202]
	v_fma_f64 v[146:147], v[94:95], s[12:13], -v[237:238]
	v_add_f64 v[193:194], v[193:194], v[211:212]
	v_fma_f64 v[189:190], v[94:95], s[12:13], v[237:238]
	v_fma_f64 v[56:57], v[114:115], s[18:19], -v[58:59]
	v_add_f64 v[88:89], v[88:89], v[100:101]
	v_fma_f64 v[22:23], v[94:95], s[18:19], v[70:71]
	v_add_f64 v[24:25], v[26:27], v[28:29]
	v_add_f64 v[14:15], v[14:15], v[18:19]
	;; [unrolled: 1-line block ×3, first 2 shown]
	v_fma_f64 v[26:27], v[120:121], s[12:13], v[54:55]
	v_add_f64 v[28:29], v[30:31], v[32:33]
	v_fma_f64 v[30:31], v[116:117], s[12:13], -v[48:49]
	v_add_f64 v[20:21], v[34:35], v[20:21]
	v_add_f64 v[50:51], v[134:135], -v[223:224]
	v_add_f64 v[154:155], v[154:155], -v[241:242]
	v_add_f64 v[156:157], v[156:157], v[185:186]
	v_fma_f64 v[160:161], v[120:121], s[2:3], v[243:244]
	v_add_f64 v[162:163], v[162:163], v[166:167]
	v_fma_f64 v[150:151], v[116:117], s[2:3], -v[219:220]
	v_add_f64 v[166:167], v[146:147], v[193:194]
	v_add_f64 v[189:190], v[189:190], v[207:208]
	v_fma_f64 v[207:208], v[120:121], s[2:3], -v[243:244]
	v_fma_f64 v[187:188], v[116:117], s[2:3], v[219:220]
	v_fma_f64 v[32:33], v[120:121], s[12:13], -v[54:55]
	v_add_f64 v[34:35], v[56:57], v[88:89]
	v_fma_f64 v[36:37], v[116:117], s[12:13], v[48:49]
	v_add_f64 v[22:23], v[22:23], v[24:25]
	v_add_f64 v[16:17], v[10:11], v[14:15]
	v_add_f64 v[14:15], v[8:9], v[18:19]
	v_add_f64 v[12:13], v[26:27], v[28:29]
	v_add_f64 v[10:11], v[30:31], v[20:21]
	v_add_f64 v[42:43], v[50:51], v[52:53]
	v_add_f64 v[116:117], v[154:155], v[156:157]
	v_add_f64 v[152:153], v[160:161], v[162:163]
	v_add_f64 v[150:151], v[150:151], v[166:167]
	s_movk_i32 s0, 0xd0
	v_mad_u32_u24 v8, v170, s0, 0
	v_add_f64 v[146:147], v[207:208], v[217:218]
	v_add_f64 v[144:145], v[187:188], v[189:190]
	;; [unrolled: 1-line block ×4, first 2 shown]
	ds_write_b128 v8, v[14:17]
	ds_write_b128 v8, v[10:13] offset:16
	ds_write_b128 v8, v[42:45] offset:32
	;; [unrolled: 1-line block ×12, first 2 shown]
.LBB0_13:
	s_or_b64 exec, exec, s[26:27]
	s_movk_i32 s0, 0x4f
	v_add_u32_e32 v52, 0x9c, v170
	v_mul_lo_u16_sdwa v8, v170, s0 dst_sel:DWORD dst_unused:UNUSED_PAD src0_sel:BYTE_0 src1_sel:DWORD
	s_movk_i32 s0, 0x4ec5
	v_add_u32_e32 v51, 0x138, v170
	v_lshrrev_b16_e32 v9, 10, v8
	v_mul_u32_u24_sdwa v47, v52, s0 dst_sel:DWORD dst_unused:UNUSED_PAD src0_sel:WORD_0 src1_sel:DWORD
	v_mul_lo_u16_e32 v10, 13, v9
	v_lshrrev_b32_e32 v45, 18, v47
	v_mul_u32_u24_sdwa v49, v51, s0 dst_sel:DWORD dst_unused:UNUSED_PAD src0_sel:WORD_0 src1_sel:DWORD
	v_add_u32_e32 v50, 0x1d4, v170
	v_sub_u16_e32 v10, v170, v10
	v_mov_b32_e32 v12, 4
	v_mul_lo_u16_e32 v13, 13, v45
	v_lshrrev_b32_e32 v61, 18, v49
	v_lshlrev_b32_sdwa v10, v12, v10 dst_sel:DWORD dst_unused:UNUSED_PAD src0_sel:DWORD src1_sel:BYTE_0
	v_sub_u16_e32 v13, v52, v13
	v_mul_lo_u16_e32 v21, 13, v61
	v_mul_u32_u24_sdwa v63, v50, s0 dst_sel:DWORD dst_unused:UNUSED_PAD src0_sel:WORD_0 src1_sel:DWORD
	s_load_dwordx2 s[2:3], s[4:5], 0x0
	s_waitcnt lgkmcnt(0)
	s_barrier
	v_add_u32_e32 v11, 0x270, v170
	v_lshlrev_b32_e32 v46, 4, v13
	global_load_dwordx4 v[13:16], v10, s[8:9]
	global_load_dwordx4 v[17:20], v46, s[8:9]
	v_sub_u16_e32 v21, v51, v21
	v_lshrrev_b32_e32 v88, 18, v63
	v_lshlrev_b32_e32 v62, 4, v21
	v_mul_lo_u16_e32 v21, 13, v88
	v_mul_u32_u24_sdwa v92, v11, s0 dst_sel:DWORD dst_unused:UNUSED_PAD src0_sel:WORD_0 src1_sel:DWORD
	v_sub_u16_e32 v21, v50, v21
	v_lshrrev_b32_e32 v90, 18, v92
	v_lshlrev_b32_e32 v89, 4, v21
	global_load_dwordx4 v[21:24], v62, s[8:9]
	global_load_dwordx4 v[25:28], v89, s[8:9]
	v_mul_lo_u16_e32 v29, 13, v90
	v_sub_u16_e32 v29, v11, v29
	v_lshlrev_b32_e32 v91, 4, v29
	global_load_dwordx4 v[29:32], v91, s[8:9]
	v_lshl_add_u32 v48, v170, 4, 0
	ds_read_b128 v[33:36], v48
	ds_read_b128 v[37:40], v48 offset:2496
	ds_read_b128 v[41:44], v48 offset:14976
	;; [unrolled: 1-line block ×9, first 2 shown]
	v_mul_u32_u24_e32 v9, 0x1a0, v9
	v_mul_u32_u24_e32 v45, 0x1a0, v45
	v_add3_u32 v94, 0, v9, v10
	v_add3_u32 v95, 0, v45, v46
	v_mul_u32_u24_e32 v61, 0x1a0, v61
	v_add3_u32 v96, 0, v61, v62
	v_mul_u32_u24_e32 v88, 0x1a0, v88
	v_add3_u32 v97, 0, v88, v89
	v_mul_u32_u24_e32 v90, 0x1a0, v90
	v_add3_u32 v98, 0, v90, v91
	v_lshrrev_b16_e32 v93, 11, v8
	s_waitcnt vmcnt(0) lgkmcnt(0)
	s_barrier
	s_mov_b32 s0, 0x134454ff
	s_mov_b32 s1, 0x3fee6f0e
	;; [unrolled: 1-line block ×12, first 2 shown]
	v_mul_f64 v[9:10], v[74:75], v[15:16]
	v_mul_f64 v[15:16], v[72:73], v[15:16]
	;; [unrolled: 1-line block ×4, first 2 shown]
	v_fma_f64 v[9:10], v[72:73], v[13:14], -v[9:10]
	v_mul_f64 v[61:62], v[55:56], v[23:24]
	v_mul_f64 v[23:24], v[53:54], v[23:24]
	;; [unrolled: 1-line block ×4, first 2 shown]
	v_fma_f64 v[15:16], v[74:75], v[13:14], v[15:16]
	v_mul_f64 v[90:91], v[86:87], v[31:32]
	v_mul_f64 v[31:32], v[84:85], v[31:32]
	v_fma_f64 v[41:42], v[41:42], v[17:18], -v[45:46]
	v_fma_f64 v[19:20], v[43:44], v[17:18], v[19:20]
	v_fma_f64 v[43:44], v[53:54], v[21:22], -v[61:62]
	v_fma_f64 v[23:24], v[55:56], v[21:22], v[23:24]
	;; [unrolled: 2-line block ×4, first 2 shown]
	v_add_f64 v[13:14], v[33:34], -v[9:10]
	v_add_f64 v[15:16], v[35:36], -v[15:16]
	;; [unrolled: 1-line block ×10, first 2 shown]
	v_fma_f64 v[33:34], v[33:34], 2.0, -v[13:14]
	v_fma_f64 v[35:36], v[35:36], 2.0, -v[15:16]
	;; [unrolled: 1-line block ×8, first 2 shown]
	v_lshrrev_b32_e32 v10, 19, v47
	v_fma_f64 v[57:58], v[76:77], 2.0, -v[29:30]
	v_fma_f64 v[59:60], v[78:79], 2.0, -v[31:32]
	ds_write_b128 v94, v[13:16] offset:208
	ds_write_b128 v94, v[33:36]
	ds_write_b128 v95, v[37:40]
	ds_write_b128 v95, v[17:20] offset:208
	ds_write_b128 v96, v[41:44]
	ds_write_b128 v96, v[21:24] offset:208
	;; [unrolled: 2-line block ×4, first 2 shown]
	v_mul_lo_u16_e32 v9, 26, v93
	v_mul_lo_u16_e32 v13, 26, v10
	v_sub_u16_e32 v9, v170, v9
	v_sub_u16_e32 v13, v52, v13
	v_lshrrev_b32_e32 v14, 19, v49
	v_lshlrev_b32_sdwa v9, v12, v9 dst_sel:DWORD dst_unused:UNUSED_PAD src0_sel:DWORD src1_sel:BYTE_0
	v_lshlrev_b32_e32 v35, 4, v13
	v_mul_lo_u16_e32 v13, 26, v14
	s_waitcnt lgkmcnt(0)
	s_barrier
	global_load_dwordx4 v[15:18], v9, s[8:9] offset:208
	global_load_dwordx4 v[19:22], v35, s[8:9] offset:208
	v_sub_u16_e32 v13, v51, v13
	v_lshrrev_b32_e32 v37, 19, v63
	v_lshlrev_b32_e32 v36, 4, v13
	v_mul_lo_u16_e32 v13, 26, v37
	v_sub_u16_e32 v13, v50, v13
	v_lshrrev_b32_e32 v39, 19, v92
	v_lshlrev_b32_e32 v38, 4, v13
	global_load_dwordx4 v[23:26], v36, s[8:9] offset:208
	global_load_dwordx4 v[27:30], v38, s[8:9] offset:208
	v_mul_lo_u16_e32 v13, 26, v39
	v_sub_u16_e32 v11, v11, v13
	v_lshlrev_b32_e32 v11, 4, v11
	global_load_dwordx4 v[31:34], v11, s[8:9] offset:208
	v_lshrrev_b16_e32 v13, 12, v8
	v_mul_u32_u24_e32 v41, 0x340, v14
	v_mul_lo_u16_e32 v14, 52, v13
	v_mov_b32_e32 v40, 9
	v_sub_u16_e32 v14, v170, v14
	v_mul_u32_u24_e32 v8, 0x340, v93
	v_mul_u32_u24_e32 v10, 0x340, v10
	;; [unrolled: 1-line block ×4, first 2 shown]
	v_mul_u32_u24_sdwa v40, v14, v40 dst_sel:DWORD dst_unused:UNUSED_PAD src0_sel:BYTE_0 src1_sel:DWORD
	v_add3_u32 v47, 0, v8, v9
	v_add3_u32 v49, 0, v10, v35
	;; [unrolled: 1-line block ×5, first 2 shown]
	v_lshlrev_b32_e32 v94, 4, v40
	ds_read_b128 v[8:11], v48
	ds_read_b128 v[35:38], v48 offset:2496
	ds_read_b128 v[39:42], v48 offset:14976
	;; [unrolled: 1-line block ×9, first 2 shown]
	s_waitcnt vmcnt(0) lgkmcnt(0)
	s_barrier
	v_mul_u32_u24_e32 v13, 0x2080, v13
	v_lshlrev_b32_sdwa v12, v12, v14 dst_sel:DWORD dst_unused:UNUSED_PAD src0_sel:DWORD src1_sel:BYTE_0
	v_add3_u32 v12, 0, v13, v12
	v_mul_f64 v[61:62], v[70:71], v[17:18]
	v_mul_f64 v[17:18], v[68:69], v[17:18]
	;; [unrolled: 1-line block ×8, first 2 shown]
	v_fma_f64 v[61:62], v[68:69], v[15:16], -v[61:62]
	v_mul_f64 v[90:91], v[82:83], v[33:34]
	v_mul_f64 v[33:34], v[80:81], v[33:34]
	v_fma_f64 v[17:18], v[70:71], v[15:16], v[17:18]
	v_fma_f64 v[39:40], v[39:40], v[19:20], -v[84:85]
	v_fma_f64 v[21:22], v[41:42], v[19:20], v[21:22]
	v_fma_f64 v[41:42], v[43:44], v[23:24], -v[86:87]
	;; [unrolled: 2-line block ×4, first 2 shown]
	v_fma_f64 v[33:34], v[82:83], v[31:32], v[33:34]
	v_add_f64 v[15:16], v[8:9], -v[61:62]
	v_add_f64 v[17:18], v[10:11], -v[17:18]
	;; [unrolled: 1-line block ×10, first 2 shown]
	v_fma_f64 v[8:9], v[8:9], 2.0, -v[15:16]
	v_fma_f64 v[10:11], v[10:11], 2.0, -v[17:18]
	;; [unrolled: 1-line block ×10, first 2 shown]
	ds_write_b128 v47, v[15:18] offset:416
	ds_write_b128 v47, v[8:11]
	ds_write_b128 v49, v[35:38]
	ds_write_b128 v49, v[19:22] offset:416
	ds_write_b128 v63, v[39:42]
	ds_write_b128 v63, v[23:26] offset:416
	;; [unrolled: 2-line block ×4, first 2 shown]
	s_waitcnt lgkmcnt(0)
	s_barrier
	global_load_dwordx4 v[8:11], v94, s[8:9] offset:624
	global_load_dwordx4 v[15:18], v94, s[8:9] offset:640
	;; [unrolled: 1-line block ×9, first 2 shown]
	ds_read_b128 v[53:56], v48
	ds_read_b128 v[57:60], v48 offset:2496
	ds_read_b128 v[68:71], v48 offset:4992
	;; [unrolled: 1-line block ×9, first 2 shown]
	s_waitcnt vmcnt(0) lgkmcnt(0)
	s_barrier
	v_mul_f64 v[61:62], v[59:60], v[10:11]
	v_mul_f64 v[10:11], v[57:58], v[10:11]
	;; [unrolled: 1-line block ×18, first 2 shown]
	v_fma_f64 v[57:58], v[57:58], v[8:9], -v[61:62]
	v_fma_f64 v[8:9], v[59:60], v[8:9], v[10:11]
	v_fma_f64 v[10:11], v[68:69], v[15:16], -v[100:101]
	v_fma_f64 v[15:16], v[70:71], v[15:16], v[17:18]
	v_fma_f64 v[17:18], v[72:73], v[19:20], -v[102:103]
	v_fma_f64 v[19:20], v[74:75], v[19:20], v[21:22]
	v_fma_f64 v[21:22], v[76:77], v[23:24], -v[104:105]
	v_fma_f64 v[23:24], v[78:79], v[23:24], v[25:26]
	v_fma_f64 v[25:26], v[80:81], v[27:28], -v[106:107]
	v_fma_f64 v[27:28], v[82:83], v[27:28], v[29:30]
	v_fma_f64 v[29:30], v[84:85], v[31:32], -v[108:109]
	v_fma_f64 v[31:32], v[86:87], v[31:32], v[33:34]
	v_fma_f64 v[33:34], v[94:95], v[39:40], v[41:42]
	v_fma_f64 v[41:42], v[88:89], v[35:36], -v[110:111]
	v_fma_f64 v[35:36], v[90:91], v[35:36], v[37:38]
	v_fma_f64 v[37:38], v[92:93], v[39:40], -v[112:113]
	v_fma_f64 v[39:40], v[96:97], v[43:44], -v[114:115]
	v_fma_f64 v[43:44], v[98:99], v[43:44], v[45:46]
	v_add_f64 v[45:46], v[53:54], v[10:11]
	v_add_f64 v[59:60], v[21:22], v[29:30]
	v_add_f64 v[70:71], v[10:11], -v[21:22]
	v_add_f64 v[80:81], v[55:56], v[15:16]
	v_add_f64 v[82:83], v[23:24], v[31:32]
	v_add_f64 v[72:73], v[37:38], -v[29:30]
	;; [unrolled: 3-line block ×3, first 2 shown]
	v_add_f64 v[68:69], v[23:24], -v[31:32]
	v_add_f64 v[76:77], v[21:22], -v[10:11]
	;; [unrolled: 1-line block ×8, first 2 shown]
	v_add_f64 v[96:97], v[25:26], v[41:42]
	v_add_f64 v[21:22], v[45:46], v[21:22]
	v_fma_f64 v[45:46], v[59:60], -0.5, v[53:54]
	v_add_f64 v[59:60], v[70:71], v[72:73]
	v_fma_f64 v[53:54], v[74:75], -0.5, v[53:54]
	;; [unrolled: 2-line block ×3, first 2 shown]
	v_fma_f64 v[55:56], v[90:91], -0.5, v[55:56]
	v_add_f64 v[92:93], v[31:32], -v[33:34]
	v_add_f64 v[94:95], v[57:58], v[17:18]
	v_add_f64 v[98:99], v[19:20], -v[43:44]
	v_add_f64 v[70:71], v[76:77], v[78:79]
	v_add_f64 v[74:75], v[86:87], v[88:89]
	v_fma_f64 v[78:79], v[96:97], -0.5, v[57:58]
	v_add_f64 v[21:22], v[21:22], v[29:30]
	v_fma_f64 v[29:30], v[61:62], s[0:1], v[45:46]
	v_fma_f64 v[45:46], v[61:62], s[10:11], v[45:46]
	;; [unrolled: 1-line block ×4, first 2 shown]
	v_add_f64 v[23:24], v[23:24], v[31:32]
	v_fma_f64 v[31:32], v[10:11], s[10:11], v[72:73]
	v_fma_f64 v[72:73], v[10:11], s[0:1], v[72:73]
	;; [unrolled: 1-line block ×4, first 2 shown]
	v_add_f64 v[100:101], v[27:28], -v[35:36]
	v_add_f64 v[102:103], v[17:18], -v[25:26]
	;; [unrolled: 1-line block ×3, first 2 shown]
	v_add_f64 v[108:109], v[27:28], v[35:36]
	v_add_f64 v[15:16], v[15:16], v[92:93]
	;; [unrolled: 1-line block ×3, first 2 shown]
	v_fma_f64 v[88:89], v[98:99], s[0:1], v[78:79]
	v_add_f64 v[37:38], v[21:22], v[37:38]
	v_fma_f64 v[21:22], v[68:69], s[4:5], v[29:30]
	v_fma_f64 v[29:30], v[68:69], s[12:13], v[45:46]
	;; [unrolled: 1-line block ×4, first 2 shown]
	v_add_f64 v[61:62], v[23:24], v[33:34]
	v_fma_f64 v[23:24], v[84:85], s[12:13], v[31:32]
	v_fma_f64 v[31:32], v[84:85], s[4:5], v[72:73]
	;; [unrolled: 1-line block ×4, first 2 shown]
	v_add_f64 v[80:81], v[102:103], v[104:105]
	v_add_f64 v[76:77], v[76:77], v[41:42]
	v_fma_f64 v[55:56], v[100:101], s[4:5], v[88:89]
	v_fma_f64 v[45:46], v[70:71], s[6:7], v[45:46]
	;; [unrolled: 1-line block ×7, first 2 shown]
	v_add_f64 v[15:16], v[19:20], v[43:44]
	v_fma_f64 v[31:32], v[108:109], -0.5, v[8:9]
	v_add_f64 v[33:34], v[17:18], -v[39:40]
	v_add_f64 v[106:107], v[17:18], v[39:40]
	v_fma_f64 v[68:69], v[59:60], s[6:7], v[21:22]
	v_fma_f64 v[59:60], v[59:60], s[6:7], v[29:30]
	;; [unrolled: 1-line block ×3, first 2 shown]
	v_add_f64 v[76:77], v[76:77], v[39:40]
	v_fma_f64 v[29:30], v[80:81], s[6:7], v[55:56]
	v_add_f64 v[55:56], v[8:9], v[19:20]
	v_add_f64 v[78:79], v[25:26], -v[41:42]
	v_fma_f64 v[8:9], v[15:16], -0.5, v[8:9]
	v_add_f64 v[15:16], v[25:26], -v[17:18]
	v_add_f64 v[17:18], v[41:42], -v[39:40]
	v_fma_f64 v[25:26], v[33:34], s[10:11], v[31:32]
	v_add_f64 v[39:40], v[19:20], -v[27:28]
	v_add_f64 v[41:42], v[43:44], -v[35:36]
	v_fma_f64 v[57:58], v[106:107], -0.5, v[57:58]
	v_add_f64 v[55:56], v[55:56], v[27:28]
	v_fma_f64 v[82:83], v[78:79], s[0:1], v[8:9]
	v_add_f64 v[19:20], v[27:28], -v[19:20]
	v_add_f64 v[27:28], v[35:36], -v[43:44]
	v_fma_f64 v[25:26], v[78:79], s[12:13], v[25:26]
	v_fma_f64 v[31:32], v[33:34], s[0:1], v[31:32]
	v_add_f64 v[39:40], v[39:40], v[41:42]
	v_fma_f64 v[23:24], v[100:101], s[10:11], v[57:58]
	v_fma_f64 v[57:58], v[100:101], s[0:1], v[57:58]
	;; [unrolled: 1-line block ×4, first 2 shown]
	v_add_f64 v[19:20], v[19:20], v[27:28]
	v_add_f64 v[27:28], v[55:56], v[35:36]
	v_fma_f64 v[31:32], v[78:79], s[4:5], v[31:32]
	v_fma_f64 v[25:26], v[39:40], s[6:7], v[25:26]
	v_fma_f64 v[23:24], v[98:99], s[4:5], v[23:24]
	v_add_f64 v[15:16], v[15:16], v[17:18]
	v_fma_f64 v[17:18], v[98:99], s[12:13], v[57:58]
	v_fma_f64 v[8:9], v[33:34], s[4:5], v[8:9]
	;; [unrolled: 1-line block ×4, first 2 shown]
	v_add_f64 v[41:42], v[27:28], v[43:44]
	v_fma_f64 v[27:28], v[39:40], s[6:7], v[31:32]
	v_mul_f64 v[31:32], v[25:26], s[4:5]
	v_fma_f64 v[23:24], v[15:16], s[6:7], v[23:24]
	v_fma_f64 v[17:18], v[15:16], s[6:7], v[17:18]
	v_fma_f64 v[8:9], v[19:20], s[6:7], v[8:9]
	v_fma_f64 v[21:22], v[80:81], s[6:7], v[21:22]
	v_mul_f64 v[19:20], v[33:34], s[0:1]
	v_add_f64 v[15:16], v[37:38], v[76:77]
	v_mul_f64 v[57:58], v[27:28], s[16:17]
	v_fma_f64 v[43:44], v[29:30], s[16:17], v[31:32]
	v_mul_f64 v[29:30], v[29:30], s[12:13]
	v_mul_f64 v[31:32], v[23:24], s[10:11]
	;; [unrolled: 1-line block ×5, first 2 shown]
	v_fma_f64 v[78:79], v[23:24], s[6:7], v[19:20]
	v_fma_f64 v[57:58], v[21:22], s[12:13], -v[57:58]
	v_add_f64 v[19:20], v[68:69], v[43:44]
	v_fma_f64 v[82:83], v[25:26], s[16:17], v[29:30]
	v_fma_f64 v[84:85], v[33:34], s[6:7], v[31:32]
	v_fma_f64 v[8:9], v[8:9], s[0:1], -v[35:36]
	v_fma_f64 v[55:56], v[17:18], s[10:11], -v[55:56]
	;; [unrolled: 1-line block ×3, first 2 shown]
	v_add_f64 v[17:18], v[61:62], v[41:42]
	v_add_f64 v[23:24], v[45:46], v[78:79]
	;; [unrolled: 1-line block ×8, first 2 shown]
	v_add_f64 v[35:36], v[37:38], -v[76:77]
	v_add_f64 v[37:38], v[61:62], -v[41:42]
	;; [unrolled: 1-line block ×10, first 2 shown]
	ds_write_b128 v12, v[15:18]
	ds_write_b128 v12, v[19:22] offset:832
	ds_write_b128 v12, v[23:26] offset:1664
	ds_write_b128 v12, v[27:30] offset:2496
	ds_write_b128 v12, v[31:34] offset:3328
	ds_write_b128 v12, v[35:38] offset:4160
	ds_write_b128 v12, v[39:42] offset:4992
	ds_write_b128 v12, v[43:46] offset:5824
	ds_write_b128 v12, v[53:56] offset:6656
	ds_write_b128 v12, v[8:11] offset:7488
	s_waitcnt lgkmcnt(0)
	s_barrier
	ds_read_b128 v[12:15], v48
	ds_read_b128 v[16:19], v48 offset:2496
	ds_read_b128 v[24:27], v48 offset:16640
	;; [unrolled: 1-line block ×8, first 2 shown]
	v_cmp_gt_u32_e64 s[0:1], 52, v170
	s_and_saveexec_b64 s[4:5], s[0:1]
	s_cbranch_execz .LBB0_15
; %bb.14:
	ds_read_b128 v[8:11], v48 offset:7488
	ds_read_b128 v[0:3], v48 offset:15808
	;; [unrolled: 1-line block ×3, first 2 shown]
.LBB0_15:
	s_or_b64 exec, exec, s[4:5]
	s_and_saveexec_b64 s[4:5], vcc
	s_cbranch_execz .LBB0_18
; %bb.16:
	v_lshlrev_b32_e32 v48, 1, v51
	v_mov_b32_e32 v49, 0
	v_lshlrev_b64 v[53:54], 4, v[48:49]
	v_mov_b32_e32 v63, s9
	v_add_co_u32_e32 v48, vcc, s8, v53
	v_addc_co_u32_e32 v53, vcc, v63, v54, vcc
	s_movk_i32 s4, 0x1fb0
	v_add_co_u32_e32 v61, vcc, s4, v48
	v_addc_co_u32_e32 v62, vcc, 0, v53, vcc
	s_movk_i32 s6, 0x1000
	v_add_co_u32_e32 v68, vcc, s6, v48
	v_addc_co_u32_e32 v69, vcc, 0, v53, vcc
	v_lshlrev_b32_e32 v48, 1, v52
	global_load_dwordx4 v[53:56], v[68:69], off offset:4016
	global_load_dwordx4 v[57:60], v[61:62], off offset:16
	v_lshlrev_b64 v[61:62], 4, v[48:49]
	s_mov_b32 s5, 0xbfebb67a
	v_add_co_u32_e32 v48, vcc, s8, v61
	v_addc_co_u32_e32 v68, vcc, v63, v62, vcc
	v_add_co_u32_e32 v61, vcc, s4, v48
	v_addc_co_u32_e32 v62, vcc, 0, v68, vcc
	;; [unrolled: 2-line block ×3, first 2 shown]
	v_lshlrev_b32_e32 v48, 1, v170
	global_load_dwordx4 v[68:71], v[76:77], off offset:4016
	global_load_dwordx4 v[72:75], v[61:62], off offset:16
	v_lshlrev_b64 v[61:62], 4, v[48:49]
	s_movk_i32 s7, 0x410
	v_add_co_u32_e32 v48, vcc, s8, v61
	v_addc_co_u32_e32 v63, vcc, v63, v62, vcc
	v_add_co_u32_e32 v61, vcc, s4, v48
	v_addc_co_u32_e32 v62, vcc, 0, v63, vcc
	;; [unrolled: 2-line block ×3, first 2 shown]
	global_load_dwordx4 v[76:79], v[84:85], off offset:4016
	global_load_dwordx4 v[80:83], v[61:62], off offset:16
	v_mul_lo_u32 v48, s3, v66
	v_mul_lo_u32 v63, s2, v67
	v_mad_u64_u32 v[61:62], s[2:3], s2, v66, 0
	s_mov_b32 s2, 0xe8584caa
	s_mov_b32 s3, 0x3febb67a
	;; [unrolled: 1-line block ×3, first 2 shown]
	v_add3_u32 v62, v62, v63, v48
	s_waitcnt vmcnt(5) lgkmcnt(1)
	v_mul_f64 v[66:67], v[42:43], v[55:56]
	s_waitcnt vmcnt(4) lgkmcnt(0)
	v_mul_f64 v[84:85], v[46:47], v[59:60]
	v_mul_f64 v[55:56], v[40:41], v[55:56]
	;; [unrolled: 1-line block ×3, first 2 shown]
	v_fma_f64 v[40:41], v[40:41], v[53:54], -v[66:67]
	v_fma_f64 v[44:45], v[44:45], v[57:58], -v[84:85]
	v_fma_f64 v[42:43], v[42:43], v[53:54], v[55:56]
	v_fma_f64 v[46:47], v[46:47], v[57:58], v[59:60]
	s_waitcnt vmcnt(3)
	v_mul_f64 v[86:87], v[38:39], v[70:71]
	s_waitcnt vmcnt(2)
	v_mul_f64 v[88:89], v[34:35], v[74:75]
	v_mul_f64 v[70:71], v[36:37], v[70:71]
	;; [unrolled: 1-line block ×3, first 2 shown]
	v_fma_f64 v[36:37], v[36:37], v[68:69], -v[86:87]
	v_fma_f64 v[32:33], v[32:33], v[72:73], -v[88:89]
	v_fma_f64 v[38:39], v[38:39], v[68:69], v[70:71]
	v_fma_f64 v[34:35], v[34:35], v[72:73], v[74:75]
	s_waitcnt vmcnt(1)
	v_mul_f64 v[90:91], v[30:31], v[78:79]
	s_waitcnt vmcnt(0)
	v_mul_f64 v[92:93], v[26:27], v[82:83]
	v_mul_f64 v[78:79], v[28:29], v[78:79]
	;; [unrolled: 1-line block ×3, first 2 shown]
	v_add_f64 v[68:69], v[38:39], v[34:35]
	v_add_f64 v[70:71], v[18:19], v[38:39]
	v_add_f64 v[74:75], v[38:39], -v[34:35]
	v_add_f64 v[72:73], v[36:37], v[32:33]
	v_fma_f64 v[53:54], v[28:29], v[76:77], -v[90:91]
	v_fma_f64 v[57:58], v[24:25], v[80:81], -v[92:93]
	v_fma_f64 v[55:56], v[30:31], v[76:77], v[78:79]
	v_fma_f64 v[59:60], v[26:27], v[80:81], v[82:83]
	v_add_f64 v[24:25], v[40:41], -v[44:45]
	v_add_f64 v[26:27], v[42:43], v[46:47]
	v_add_f64 v[28:29], v[22:23], v[42:43]
	v_add_f64 v[30:31], v[40:41], v[44:45]
	v_add_f64 v[40:41], v[20:21], v[40:41]
	v_add_f64 v[80:81], v[53:54], v[57:58]
	v_add_f64 v[66:67], v[36:37], -v[32:33]
	v_add_f64 v[38:39], v[55:56], v[59:60]
	v_add_f64 v[42:43], v[42:43], -v[46:47]
	v_fma_f64 v[82:83], v[26:27], -0.5, v[22:23]
	v_add_f64 v[22:23], v[28:29], v[46:47]
	v_fma_f64 v[28:29], v[30:31], -0.5, v[20:21]
	v_add_f64 v[20:21], v[40:41], v[44:45]
	v_fma_f64 v[40:41], v[68:69], -0.5, v[18:19]
	v_add_f64 v[76:77], v[53:54], -v[57:58]
	v_add_f64 v[78:79], v[14:15], v[55:56]
	v_fma_f64 v[14:15], v[38:39], -0.5, v[14:15]
	v_add_f64 v[36:37], v[16:17], v[36:37]
	v_fma_f64 v[44:45], v[72:73], -0.5, v[16:17]
	v_fma_f64 v[68:69], v[80:81], -0.5, v[12:13]
	v_add_f64 v[12:13], v[12:13], v[53:54]
	v_add_f64 v[18:19], v[70:71], v[34:35]
	v_fma_f64 v[34:35], v[66:67], s[2:3], v[40:41]
	v_fma_f64 v[38:39], v[66:67], s[4:5], v[40:41]
	v_mad_u64_u32 v[66:67], s[10:11], s20, v170, 0
	v_fma_f64 v[26:27], v[24:25], s[2:3], v[82:83]
	v_fma_f64 v[30:31], v[24:25], s[4:5], v[82:83]
	;; [unrolled: 1-line block ×6, first 2 shown]
	v_mov_b32_e32 v14, v67
	v_add_f64 v[16:17], v[36:37], v[32:33]
	v_fma_f64 v[32:33], v[74:75], s[4:5], v[44:45]
	v_fma_f64 v[36:37], v[74:75], s[2:3], v[44:45]
	v_add_f64 v[44:45], v[55:56], -v[59:60]
	v_mad_u64_u32 v[14:15], s[10:11], s21, v170, v[14:15]
	v_add_f64 v[55:56], v[78:79], v[59:60]
	v_add_f64 v[53:54], v[12:13], v[57:58]
	v_lshlrev_b64 v[12:13], 4, v[61:62]
	v_add_u32_e32 v59, 0x208, v170
	v_mad_u64_u32 v[57:58], s[10:11], s20, v59, 0
	v_mov_b32_e32 v67, v14
	v_mov_b32_e32 v14, s15
	v_add_co_u32_e32 v15, vcc, s14, v12
	v_addc_co_u32_e32 v14, vcc, v14, v13, vcc
	v_lshlrev_b64 v[12:13], 4, v[64:65]
	v_mov_b32_e32 v48, v58
	v_add_co_u32_e32 v12, vcc, v15, v12
	v_fma_f64 v[40:41], v[44:45], s[4:5], v[68:69]
	v_fma_f64 v[44:45], v[44:45], s[2:3], v[68:69]
	v_addc_co_u32_e32 v13, vcc, v14, v13, vcc
	v_lshlrev_b64 v[14:15], 4, v[66:67]
	v_mad_u64_u32 v[58:59], s[10:11], s21, v59, v[48:49]
	v_add_u32_e32 v61, 0x410, v170
	v_add_co_u32_e32 v14, vcc, v12, v14
	v_mad_u64_u32 v[59:60], s[10:11], s20, v61, 0
	v_addc_co_u32_e32 v15, vcc, v13, v15, vcc
	global_store_dwordx4 v[14:15], v[53:56], off
	v_lshlrev_b64 v[14:15], 4, v[57:58]
	v_mov_b32_e32 v48, v60
	v_add_co_u32_e32 v14, vcc, v12, v14
	v_mad_u64_u32 v[53:54], s[10:11], s21, v61, v[48:49]
	v_addc_co_u32_e32 v15, vcc, v13, v15, vcc
	global_store_dwordx4 v[14:15], v[44:47], off
	v_mov_b32_e32 v60, v53
	v_mad_u64_u32 v[44:45], s[10:11], s20, v52, 0
	v_lshlrev_b64 v[14:15], 4, v[59:60]
	v_add_u32_e32 v48, 0x2a4, v170
	v_mad_u64_u32 v[45:46], s[10:11], s21, v52, v[45:46]
	v_add_co_u32_e32 v14, vcc, v12, v14
	v_addc_co_u32_e32 v15, vcc, v13, v15, vcc
	v_mad_u64_u32 v[46:47], s[10:11], s20, v48, 0
	global_store_dwordx4 v[14:15], v[40:43], off
	v_lshlrev_b64 v[14:15], 4, v[44:45]
	v_mov_b32_e32 v40, v47
	v_add_co_u32_e32 v14, vcc, v12, v14
	v_addc_co_u32_e32 v15, vcc, v13, v15, vcc
	global_store_dwordx4 v[14:15], v[16:19], off
	v_mad_u64_u32 v[40:41], s[10:11], s21, v48, v[40:41]
	v_add_u32_e32 v18, 0x4ac, v170
	v_mad_u64_u32 v[16:17], s[10:11], s20, v18, 0
	s_mov_b32 s10, 0xfc0fc0fd
	v_mul_hi_u32 v19, v51, s10
	v_mad_u64_u32 v[17:18], s[10:11], s21, v18, v[17:18]
	v_mov_b32_e32 v47, v40
	v_lshrrev_b32_e32 v18, 9, v19
	v_mad_u32_u24 v40, v18, s7, v51
	v_lshlrev_b64 v[14:15], 4, v[46:47]
	v_mad_u64_u32 v[18:19], s[10:11], s20, v40, 0
	v_add_co_u32_e32 v14, vcc, v12, v14
	v_addc_co_u32_e32 v15, vcc, v13, v15, vcc
	global_store_dwordx4 v[14:15], v[36:39], off
	v_lshlrev_b64 v[14:15], 4, v[16:17]
	v_mov_b32_e32 v16, v19
	v_mad_u64_u32 v[16:17], s[10:11], s21, v40, v[16:17]
	v_add_co_u32_e32 v14, vcc, v12, v14
	v_addc_co_u32_e32 v15, vcc, v13, v15, vcc
	v_mov_b32_e32 v19, v16
	global_store_dwordx4 v[14:15], v[32:35], off
	v_lshlrev_b64 v[14:15], 4, v[18:19]
	v_add_u32_e32 v18, 0x208, v40
	v_mad_u64_u32 v[16:17], s[10:11], s20, v18, 0
	v_add_u32_e32 v32, 0x410, v40
	v_add_co_u32_e32 v14, vcc, v12, v14
	v_mad_u64_u32 v[17:18], s[10:11], s21, v18, v[17:18]
	v_mad_u64_u32 v[18:19], s[10:11], s20, v32, 0
	v_addc_co_u32_e32 v15, vcc, v13, v15, vcc
	global_store_dwordx4 v[14:15], v[20:23], off
	v_lshlrev_b64 v[14:15], 4, v[16:17]
	v_mov_b32_e32 v16, v19
	v_mad_u64_u32 v[16:17], s[10:11], s21, v32, v[16:17]
	v_add_co_u32_e32 v14, vcc, v12, v14
	v_addc_co_u32_e32 v15, vcc, v13, v15, vcc
	v_mov_b32_e32 v19, v16
	global_store_dwordx4 v[14:15], v[28:31], off
	v_lshlrev_b64 v[14:15], 4, v[18:19]
	v_add_co_u32_e32 v14, vcc, v12, v14
	v_addc_co_u32_e32 v15, vcc, v13, v15, vcc
	global_store_dwordx4 v[14:15], v[24:27], off
	s_and_b64 exec, exec, s[0:1]
	s_cbranch_execz .LBB0_18
; %bb.17:
	v_subrev_u32_e32 v14, 52, v170
	v_cndmask_b32_e64 v14, v14, v50, s[0:1]
	v_lshlrev_b32_e32 v48, 1, v14
	v_lshlrev_b64 v[14:15], 4, v[48:49]
	v_mov_b32_e32 v16, s9
	v_add_co_u32_e32 v14, vcc, s8, v14
	v_addc_co_u32_e32 v19, vcc, v16, v15, vcc
	v_add_co_u32_e32 v18, vcc, 0x1fb0, v14
	s_mov_b64 s[0:1], vcc
	v_add_co_u32_e32 v14, vcc, s6, v14
	v_addc_co_u32_e32 v15, vcc, 0, v19, vcc
	v_addc_co_u32_e64 v19, vcc, 0, v19, s[0:1]
	global_load_dwordx4 v[14:17], v[14:15], off offset:4016
	v_add_u32_e32 v33, 0x3dc, v170
	global_load_dwordx4 v[18:21], v[18:19], off offset:16
	v_mad_u64_u32 v[22:23], s[0:1], s20, v50, 0
	v_mad_u64_u32 v[24:25], s[0:1], s20, v33, 0
	v_add_u32_e32 v35, 0x5e4, v170
	v_mad_u64_u32 v[26:27], s[0:1], s20, v35, 0
	v_mad_u64_u32 v[28:29], s[0:1], s21, v50, v[23:24]
	v_mov_b32_e32 v23, v25
	v_mov_b32_e32 v25, v27
	v_mad_u64_u32 v[33:34], s[0:1], s21, v33, v[23:24]
	v_mov_b32_e32 v23, v28
	s_waitcnt vmcnt(1)
	v_mul_f64 v[29:30], v[2:3], v[16:17]
	v_mul_f64 v[16:17], v[0:1], v[16:17]
	s_waitcnt vmcnt(0)
	v_mul_f64 v[31:32], v[6:7], v[20:21]
	v_mul_f64 v[20:21], v[4:5], v[20:21]
	v_fma_f64 v[0:1], v[0:1], v[14:15], -v[29:30]
	v_fma_f64 v[2:3], v[2:3], v[14:15], v[16:17]
	v_fma_f64 v[4:5], v[4:5], v[18:19], -v[31:32]
	v_fma_f64 v[6:7], v[6:7], v[18:19], v[20:21]
	v_mad_u64_u32 v[14:15], s[0:1], s21, v35, v[25:26]
	v_mov_b32_e32 v25, v33
	v_lshlrev_b64 v[15:16], 4, v[22:23]
	v_mov_b32_e32 v27, v14
	v_lshlrev_b64 v[21:22], 4, v[24:25]
	v_add_f64 v[17:18], v[0:1], v[4:5]
	v_add_f64 v[19:20], v[2:3], v[6:7]
	v_lshlrev_b64 v[23:24], 4, v[26:27]
	v_add_f64 v[25:26], v[8:9], v[0:1]
	v_add_f64 v[27:28], v[2:3], -v[6:7]
	v_add_f64 v[2:3], v[10:11], v[2:3]
	v_add_f64 v[29:30], v[0:1], -v[4:5]
	v_add_co_u32_e32 v14, vcc, v12, v15
	v_fma_f64 v[8:9], v[17:18], -0.5, v[8:9]
	v_fma_f64 v[10:11], v[19:20], -0.5, v[10:11]
	v_add_f64 v[0:1], v[25:26], v[4:5]
	v_addc_co_u32_e32 v15, vcc, v13, v16, vcc
	v_add_f64 v[2:3], v[2:3], v[6:7]
	v_add_co_u32_e32 v16, vcc, v12, v21
	v_fma_f64 v[4:5], v[27:28], s[2:3], v[8:9]
	v_fma_f64 v[6:7], v[29:30], s[4:5], v[10:11]
	;; [unrolled: 1-line block ×4, first 2 shown]
	v_addc_co_u32_e32 v17, vcc, v13, v22, vcc
	v_add_co_u32_e32 v12, vcc, v12, v23
	v_addc_co_u32_e32 v13, vcc, v13, v24, vcc
	global_store_dwordx4 v[14:15], v[0:3], off
	global_store_dwordx4 v[16:17], v[4:7], off
	global_store_dwordx4 v[12:13], v[8:11], off
.LBB0_18:
	s_endpgm
	.section	.rodata,"a",@progbits
	.p2align	6, 0x0
	.amdhsa_kernel fft_rtc_fwd_len1560_factors_13_2_2_10_3_wgs_156_tpt_156_dp_op_CI_CI_sbrr_dirReg
		.amdhsa_group_segment_fixed_size 0
		.amdhsa_private_segment_fixed_size 0
		.amdhsa_kernarg_size 104
		.amdhsa_user_sgpr_count 6
		.amdhsa_user_sgpr_private_segment_buffer 1
		.amdhsa_user_sgpr_dispatch_ptr 0
		.amdhsa_user_sgpr_queue_ptr 0
		.amdhsa_user_sgpr_kernarg_segment_ptr 1
		.amdhsa_user_sgpr_dispatch_id 0
		.amdhsa_user_sgpr_flat_scratch_init 0
		.amdhsa_user_sgpr_private_segment_size 0
		.amdhsa_uses_dynamic_stack 0
		.amdhsa_system_sgpr_private_segment_wavefront_offset 0
		.amdhsa_system_sgpr_workgroup_id_x 1
		.amdhsa_system_sgpr_workgroup_id_y 0
		.amdhsa_system_sgpr_workgroup_id_z 0
		.amdhsa_system_sgpr_workgroup_info 0
		.amdhsa_system_vgpr_workitem_id 0
		.amdhsa_next_free_vgpr 249
		.amdhsa_next_free_sgpr 44
		.amdhsa_reserve_vcc 1
		.amdhsa_reserve_flat_scratch 0
		.amdhsa_float_round_mode_32 0
		.amdhsa_float_round_mode_16_64 0
		.amdhsa_float_denorm_mode_32 3
		.amdhsa_float_denorm_mode_16_64 3
		.amdhsa_dx10_clamp 1
		.amdhsa_ieee_mode 1
		.amdhsa_fp16_overflow 0
		.amdhsa_exception_fp_ieee_invalid_op 0
		.amdhsa_exception_fp_denorm_src 0
		.amdhsa_exception_fp_ieee_div_zero 0
		.amdhsa_exception_fp_ieee_overflow 0
		.amdhsa_exception_fp_ieee_underflow 0
		.amdhsa_exception_fp_ieee_inexact 0
		.amdhsa_exception_int_div_zero 0
	.end_amdhsa_kernel
	.text
.Lfunc_end0:
	.size	fft_rtc_fwd_len1560_factors_13_2_2_10_3_wgs_156_tpt_156_dp_op_CI_CI_sbrr_dirReg, .Lfunc_end0-fft_rtc_fwd_len1560_factors_13_2_2_10_3_wgs_156_tpt_156_dp_op_CI_CI_sbrr_dirReg
                                        ; -- End function
	.section	.AMDGPU.csdata,"",@progbits
; Kernel info:
; codeLenInByte = 11164
; NumSgprs: 48
; NumVgprs: 249
; ScratchSize: 0
; MemoryBound: 1
; FloatMode: 240
; IeeeMode: 1
; LDSByteSize: 0 bytes/workgroup (compile time only)
; SGPRBlocks: 5
; VGPRBlocks: 62
; NumSGPRsForWavesPerEU: 48
; NumVGPRsForWavesPerEU: 249
; Occupancy: 1
; WaveLimiterHint : 1
; COMPUTE_PGM_RSRC2:SCRATCH_EN: 0
; COMPUTE_PGM_RSRC2:USER_SGPR: 6
; COMPUTE_PGM_RSRC2:TRAP_HANDLER: 0
; COMPUTE_PGM_RSRC2:TGID_X_EN: 1
; COMPUTE_PGM_RSRC2:TGID_Y_EN: 0
; COMPUTE_PGM_RSRC2:TGID_Z_EN: 0
; COMPUTE_PGM_RSRC2:TIDIG_COMP_CNT: 0
	.type	__hip_cuid_ed6a37e4255ed2c5,@object ; @__hip_cuid_ed6a37e4255ed2c5
	.section	.bss,"aw",@nobits
	.globl	__hip_cuid_ed6a37e4255ed2c5
__hip_cuid_ed6a37e4255ed2c5:
	.byte	0                               ; 0x0
	.size	__hip_cuid_ed6a37e4255ed2c5, 1

	.ident	"AMD clang version 19.0.0git (https://github.com/RadeonOpenCompute/llvm-project roc-6.4.0 25133 c7fe45cf4b819c5991fe208aaa96edf142730f1d)"
	.section	".note.GNU-stack","",@progbits
	.addrsig
	.addrsig_sym __hip_cuid_ed6a37e4255ed2c5
	.amdgpu_metadata
---
amdhsa.kernels:
  - .args:
      - .actual_access:  read_only
        .address_space:  global
        .offset:         0
        .size:           8
        .value_kind:     global_buffer
      - .offset:         8
        .size:           8
        .value_kind:     by_value
      - .actual_access:  read_only
        .address_space:  global
        .offset:         16
        .size:           8
        .value_kind:     global_buffer
      - .actual_access:  read_only
        .address_space:  global
        .offset:         24
        .size:           8
        .value_kind:     global_buffer
      - .actual_access:  read_only
        .address_space:  global
        .offset:         32
        .size:           8
        .value_kind:     global_buffer
      - .offset:         40
        .size:           8
        .value_kind:     by_value
      - .actual_access:  read_only
        .address_space:  global
        .offset:         48
        .size:           8
        .value_kind:     global_buffer
      - .actual_access:  read_only
        .address_space:  global
        .offset:         56
        .size:           8
        .value_kind:     global_buffer
      - .offset:         64
        .size:           4
        .value_kind:     by_value
      - .actual_access:  read_only
        .address_space:  global
        .offset:         72
        .size:           8
        .value_kind:     global_buffer
      - .actual_access:  read_only
        .address_space:  global
        .offset:         80
        .size:           8
        .value_kind:     global_buffer
      - .actual_access:  read_only
        .address_space:  global
        .offset:         88
        .size:           8
        .value_kind:     global_buffer
      - .actual_access:  write_only
        .address_space:  global
        .offset:         96
        .size:           8
        .value_kind:     global_buffer
    .group_segment_fixed_size: 0
    .kernarg_segment_align: 8
    .kernarg_segment_size: 104
    .language:       OpenCL C
    .language_version:
      - 2
      - 0
    .max_flat_workgroup_size: 156
    .name:           fft_rtc_fwd_len1560_factors_13_2_2_10_3_wgs_156_tpt_156_dp_op_CI_CI_sbrr_dirReg
    .private_segment_fixed_size: 0
    .sgpr_count:     48
    .sgpr_spill_count: 0
    .symbol:         fft_rtc_fwd_len1560_factors_13_2_2_10_3_wgs_156_tpt_156_dp_op_CI_CI_sbrr_dirReg.kd
    .uniform_work_group_size: 1
    .uses_dynamic_stack: false
    .vgpr_count:     249
    .vgpr_spill_count: 0
    .wavefront_size: 64
amdhsa.target:   amdgcn-amd-amdhsa--gfx906
amdhsa.version:
  - 1
  - 2
...

	.end_amdgpu_metadata
